;; amdgpu-corpus repo=ROCm/rocFFT kind=compiled arch=gfx950 opt=O3
	.text
	.amdgcn_target "amdgcn-amd-amdhsa--gfx950"
	.amdhsa_code_object_version 6
	.protected	fft_rtc_fwd_len112_factors_4_7_4_wgs_448_tpt_28_sp_ip_CI_sbcc_twdbase5_3step ; -- Begin function fft_rtc_fwd_len112_factors_4_7_4_wgs_448_tpt_28_sp_ip_CI_sbcc_twdbase5_3step
	.globl	fft_rtc_fwd_len112_factors_4_7_4_wgs_448_tpt_28_sp_ip_CI_sbcc_twdbase5_3step
	.p2align	8
	.type	fft_rtc_fwd_len112_factors_4_7_4_wgs_448_tpt_28_sp_ip_CI_sbcc_twdbase5_3step,@function
fft_rtc_fwd_len112_factors_4_7_4_wgs_448_tpt_28_sp_ip_CI_sbcc_twdbase5_3step: ; @fft_rtc_fwd_len112_factors_4_7_4_wgs_448_tpt_28_sp_ip_CI_sbcc_twdbase5_3step
; %bb.0:
	s_load_dwordx8 s[4:11], s[0:1], 0x8
	s_movk_i32 s3, 0x60
	v_cmp_gt_u32_e32 vcc, s3, v0
	s_and_saveexec_b64 s[12:13], vcc
	s_cbranch_execz .LBB0_2
; %bb.1:
	v_lshlrev_b32_e32 v1, 3, v0
	s_waitcnt lgkmcnt(0)
	global_load_dwordx2 v[2:3], v1, s[4:5]
	v_add_u32_e32 v1, 0, v1
	s_waitcnt vmcnt(0)
	ds_write_b64 v1, v[2:3] offset:14336
.LBB0_2:
	s_or_b64 exec, exec, s[12:13]
	s_waitcnt lgkmcnt(0)
	s_load_dwordx2 s[20:21], s[8:9], 0x8
	s_mov_b32 s3, 0
	s_mov_b64 s[24:25], 0
	s_waitcnt lgkmcnt(0)
	s_add_u32 s4, s20, -1
	s_addc_u32 s5, s21, -1
	s_lshr_b64 s[4:5], s[4:5], 4
	s_add_u32 s22, s4, 1
	s_addc_u32 s23, s5, 0
	v_mov_b64_e32 v[2:3], s[22:23]
	v_cmp_lt_u64_e32 vcc, s[2:3], v[2:3]
	s_cbranch_vccnz .LBB0_4
; %bb.3:
	v_cvt_f32_u32_e32 v1, s22
	s_sub_i32 s4, 0, s22
	s_mov_b32 s25, s3
	v_rcp_iflag_f32_e32 v1, v1
	s_nop 0
	v_mul_f32_e32 v1, 0x4f7ffffe, v1
	v_cvt_u32_f32_e32 v1, v1
	s_nop 0
	v_readfirstlane_b32 s5, v1
	s_mul_i32 s4, s4, s5
	s_mul_hi_u32 s4, s5, s4
	s_add_i32 s5, s5, s4
	s_mul_hi_u32 s4, s2, s5
	s_mul_i32 s12, s4, s22
	s_sub_i32 s12, s2, s12
	s_add_i32 s5, s4, 1
	s_sub_i32 s13, s12, s22
	s_cmp_ge_u32 s12, s22
	s_cselect_b32 s4, s5, s4
	s_cselect_b32 s12, s13, s12
	s_add_i32 s5, s4, 1
	s_cmp_ge_u32 s12, s22
	s_cselect_b32 s24, s5, s4
.LBB0_4:
	s_load_dwordx2 s[16:17], s[0:1], 0x0
	s_load_dwordx4 s[12:15], s[10:11], 0x0
	s_mul_i32 s4, s24, s23
	s_mul_hi_u32 s5, s24, s22
	s_add_i32 s5, s5, s4
	s_mul_i32 s4, s24, s22
	s_sub_u32 s4, s2, s4
	s_subb_u32 s5, 0, s5
	v_mov_b32_e32 v1, s4
	s_lshl_b64 s[18:19], s[4:5], 4
	v_alignbit_b32 v1, s5, v1, 28
	s_waitcnt lgkmcnt(0)
	v_mul_lo_u32 v1, s14, v1
	s_mul_hi_u32 s4, s14, s18
	v_add_u32_e32 v1, s4, v1
	s_mul_i32 s4, s15, s18
	v_add_u32_e32 v3, s4, v1
	s_mul_i32 s4, s14, s18
	v_mov_b32_e32 v2, s4
	v_cmp_lt_u64_e64 s[4:5], s[6:7], 3
	s_and_b64 vcc, exec, s[4:5]
	s_cbranch_vccnz .LBB0_13
; %bb.5:
	s_add_u32 s26, s10, 16
	s_addc_u32 s27, s11, 0
	s_add_u32 s8, s8, 16
	s_addc_u32 s9, s9, 0
	s_mov_b64 s[28:29], 2
	s_mov_b32 s30, 0
	v_mov_b64_e32 v[4:5], s[6:7]
	s_branch .LBB0_7
.LBB0_6:                                ;   in Loop: Header=BB0_7 Depth=1
	s_mul_i32 s23, s34, s23
	s_mul_hi_u32 s31, s34, s22
	s_add_i32 s23, s31, s23
	s_mul_i32 s31, s35, s22
	s_add_i32 s23, s23, s31
	s_mul_i32 s31, s4, s35
	s_mul_hi_u32 s33, s4, s34
	s_load_dwordx2 s[36:37], s[26:27], 0x0
	s_add_i32 s31, s33, s31
	s_mul_i32 s33, s5, s34
	s_add_i32 s31, s31, s33
	s_mul_i32 s33, s4, s34
	s_sub_u32 s24, s24, s33
	s_subb_u32 s25, s25, s31
	s_waitcnt lgkmcnt(0)
	s_mul_i32 s25, s36, s25
	s_mul_hi_u32 s31, s36, s24
	s_add_i32 s25, s31, s25
	s_mul_i32 s31, s37, s24
	s_add_i32 s25, s25, s31
	s_add_u32 s28, s28, 1
	s_addc_u32 s29, s29, 0
	s_add_u32 s26, s26, 8
	s_addc_u32 s27, s27, 0
	s_mul_i32 s24, s36, s24
	s_add_u32 s8, s8, 8
	v_cmp_ge_u64_e32 vcc, s[28:29], v[4:5]
	s_mul_i32 s22, s34, s22
	v_lshl_add_u64 v[2:3], s[24:25], 0, v[2:3]
	s_addc_u32 s9, s9, 0
	s_mov_b64 s[24:25], s[4:5]
	s_cbranch_vccnz .LBB0_11
.LBB0_7:                                ; =>This Inner Loop Header: Depth=1
	s_load_dwordx2 s[34:35], s[8:9], 0x0
	s_waitcnt lgkmcnt(0)
	s_or_b64 s[4:5], s[24:25], s[34:35]
	s_mov_b32 s31, s5
	s_cmp_lg_u64 s[30:31], 0
	s_cbranch_scc0 .LBB0_9
; %bb.8:                                ;   in Loop: Header=BB0_7 Depth=1
	v_cvt_f32_u32_e32 v1, s34
	v_cvt_f32_u32_e32 v6, s35
	s_sub_u32 s4, 0, s34
	s_subb_u32 s5, 0, s35
	v_fmac_f32_e32 v1, 0x4f800000, v6
	v_rcp_f32_e32 v1, v1
	s_nop 0
	v_mul_f32_e32 v1, 0x5f7ffffc, v1
	v_mul_f32_e32 v6, 0x2f800000, v1
	v_trunc_f32_e32 v6, v6
	v_fmac_f32_e32 v1, 0xcf800000, v6
	v_cvt_u32_f32_e32 v6, v6
	v_cvt_u32_f32_e32 v1, v1
	v_readfirstlane_b32 s31, v6
	v_readfirstlane_b32 s33, v1
	s_mul_i32 s36, s4, s31
	s_mul_hi_u32 s38, s4, s33
	s_mul_i32 s37, s5, s33
	s_add_i32 s36, s38, s36
	s_mul_i32 s39, s4, s33
	s_add_i32 s36, s36, s37
	s_mul_hi_u32 s37, s33, s36
	s_mul_i32 s38, s33, s36
	s_mul_hi_u32 s33, s33, s39
	s_add_u32 s33, s33, s38
	s_addc_u32 s37, 0, s37
	s_mul_hi_u32 s40, s31, s39
	s_mul_i32 s39, s31, s39
	s_add_u32 s33, s33, s39
	s_mul_hi_u32 s38, s31, s36
	s_addc_u32 s33, s37, s40
	s_addc_u32 s37, s38, 0
	s_mul_i32 s36, s31, s36
	s_add_u32 s33, s33, s36
	s_addc_u32 s36, 0, s37
	v_add_co_u32_e32 v1, vcc, s33, v1
	s_cmp_lg_u64 vcc, 0
	s_addc_u32 s31, s31, s36
	v_readfirstlane_b32 s36, v1
	s_mul_i32 s33, s4, s31
	s_mul_hi_u32 s37, s4, s36
	s_add_i32 s33, s37, s33
	s_mul_i32 s5, s5, s36
	s_add_i32 s33, s33, s5
	s_mul_i32 s4, s4, s36
	s_mul_hi_u32 s37, s31, s4
	s_mul_i32 s38, s31, s4
	s_mul_i32 s40, s36, s33
	s_mul_hi_u32 s4, s36, s4
	s_mul_hi_u32 s39, s36, s33
	s_add_u32 s4, s4, s40
	s_addc_u32 s36, 0, s39
	s_add_u32 s4, s4, s38
	s_mul_hi_u32 s5, s31, s33
	s_addc_u32 s4, s36, s37
	s_addc_u32 s5, s5, 0
	s_mul_i32 s33, s31, s33
	s_add_u32 s4, s4, s33
	s_addc_u32 s5, 0, s5
	v_add_co_u32_e32 v1, vcc, s4, v1
	s_cmp_lg_u64 vcc, 0
	s_addc_u32 s4, s31, s5
	v_readfirstlane_b32 s33, v1
	s_mul_i32 s31, s24, s4
	s_mul_hi_u32 s36, s24, s33
	s_mul_hi_u32 s5, s24, s4
	s_add_u32 s31, s36, s31
	s_addc_u32 s5, 0, s5
	s_mul_hi_u32 s37, s25, s33
	s_mul_i32 s33, s25, s33
	s_add_u32 s31, s31, s33
	s_mul_hi_u32 s36, s25, s4
	s_addc_u32 s5, s5, s37
	s_addc_u32 s31, s36, 0
	s_mul_i32 s4, s25, s4
	s_add_u32 s33, s5, s4
	s_addc_u32 s31, 0, s31
	s_mul_i32 s4, s34, s31
	s_mul_hi_u32 s5, s34, s33
	s_add_i32 s4, s5, s4
	s_mul_i32 s5, s35, s33
	s_add_i32 s36, s4, s5
	s_mul_i32 s5, s34, s33
	v_mov_b32_e32 v1, s5
	s_sub_i32 s4, s25, s36
	v_sub_co_u32_e32 v1, vcc, s24, v1
	s_cmp_lg_u64 vcc, 0
	s_subb_u32 s37, s4, s35
	v_subrev_co_u32_e64 v6, s[4:5], s34, v1
	s_cmp_lg_u64 s[4:5], 0
	s_subb_u32 s4, s37, 0
	s_cmp_ge_u32 s4, s35
	v_readfirstlane_b32 s37, v6
	s_cselect_b32 s5, -1, 0
	s_cmp_ge_u32 s37, s34
	s_cselect_b32 s37, -1, 0
	s_cmp_eq_u32 s4, s35
	s_cselect_b32 s4, s37, s5
	s_add_u32 s5, s33, 1
	s_addc_u32 s37, s31, 0
	s_add_u32 s38, s33, 2
	s_addc_u32 s39, s31, 0
	s_cmp_lg_u32 s4, 0
	s_cselect_b32 s4, s38, s5
	s_cselect_b32 s5, s39, s37
	s_cmp_lg_u64 vcc, 0
	s_subb_u32 s36, s25, s36
	s_cmp_ge_u32 s36, s35
	v_readfirstlane_b32 s38, v1
	s_cselect_b32 s37, -1, 0
	s_cmp_ge_u32 s38, s34
	s_cselect_b32 s38, -1, 0
	s_cmp_eq_u32 s36, s35
	s_cselect_b32 s36, s38, s37
	s_cmp_lg_u32 s36, 0
	s_cselect_b32 s5, s5, s31
	s_cselect_b32 s4, s4, s33
	s_cbranch_execnz .LBB0_6
	s_branch .LBB0_10
.LBB0_9:                                ;   in Loop: Header=BB0_7 Depth=1
                                        ; implicit-def: $sgpr4_sgpr5
.LBB0_10:                               ;   in Loop: Header=BB0_7 Depth=1
	v_cvt_f32_u32_e32 v1, s34
	s_sub_i32 s4, 0, s34
	v_rcp_iflag_f32_e32 v1, v1
	s_nop 0
	v_mul_f32_e32 v1, 0x4f7ffffe, v1
	v_cvt_u32_f32_e32 v1, v1
	s_nop 0
	v_readfirstlane_b32 s5, v1
	s_mul_i32 s4, s4, s5
	s_mul_hi_u32 s4, s5, s4
	s_add_i32 s5, s5, s4
	s_mul_hi_u32 s4, s24, s5
	s_mul_i32 s31, s4, s34
	s_sub_i32 s31, s24, s31
	s_add_i32 s5, s4, 1
	s_sub_i32 s33, s31, s34
	s_cmp_ge_u32 s31, s34
	s_cselect_b32 s4, s5, s4
	s_cselect_b32 s31, s33, s31
	s_add_i32 s5, s4, 1
	s_cmp_ge_u32 s31, s34
	s_cselect_b32 s4, s5, s4
	s_mov_b32 s5, s30
	s_branch .LBB0_6
.LBB0_11:
	v_mov_b64_e32 v[4:5], s[22:23]
	v_cmp_lt_u64_e32 vcc, s[2:3], v[4:5]
	s_mov_b64 s[24:25], 0
	s_cbranch_vccnz .LBB0_13
; %bb.12:
	v_cvt_f32_u32_e32 v1, s22
	s_sub_i32 s3, 0, s22
	v_rcp_iflag_f32_e32 v1, v1
	s_nop 0
	v_mul_f32_e32 v1, 0x4f7ffffe, v1
	v_cvt_u32_f32_e32 v1, v1
	s_nop 0
	v_readfirstlane_b32 s4, v1
	s_mul_i32 s3, s3, s4
	s_mul_hi_u32 s3, s4, s3
	s_add_i32 s4, s4, s3
	s_mul_hi_u32 s3, s2, s4
	s_mul_i32 s5, s3, s22
	s_sub_i32 s2, s2, s5
	s_add_i32 s4, s3, 1
	s_sub_i32 s5, s2, s22
	s_cmp_ge_u32 s2, s22
	s_cselect_b32 s3, s4, s3
	s_cselect_b32 s2, s5, s2
	s_add_i32 s4, s3, 1
	s_cmp_ge_u32 s2, s22
	s_cselect_b32 s24, s4, s3
.LBB0_13:
	s_load_dwordx2 s[2:3], s[0:1], 0x58
	s_lshl_b64 s[0:1], s[6:7], 3
	s_add_u32 s0, s10, s0
	s_addc_u32 s1, s11, s1
	s_load_dwordx2 s[0:1], s[0:1], 0x0
	v_mov_b64_e32 v[4:5], s[20:21]
	v_and_b32_e32 v23, 15, v0
	v_lshrrev_b32_e32 v20, 4, v0
	v_lshlrev_b32_e32 v24, 3, v20
	s_waitcnt lgkmcnt(0)
	s_mul_i32 s1, s1, s24
	s_mul_hi_u32 s4, s0, s24
	s_mul_i32 s0, s0, s24
	s_add_i32 s1, s4, s1
	v_lshl_add_u64 v[2:3], s[0:1], 0, v[2:3]
	s_add_u32 s0, s18, 16
	s_addc_u32 s1, s19, 0
	v_cmp_le_u64_e32 vcc, s[0:1], v[4:5]
	v_or_b32_e32 v4, s18, v23
	v_mov_b32_e32 v5, s19
	v_cmp_gt_u64_e64 s[0:1], s[20:21], v[4:5]
	s_or_b64 s[0:1], vcc, s[0:1]
	v_lshlrev_b64 v[12:13], 3, v[2:3]
	v_add_u32_e32 v22, 28, v20
	v_add_u32_e32 v21, 56, v20
	s_and_saveexec_b64 s[4:5], s[0:1]
	s_cbranch_execz .LBB0_15
; %bb.14:
	v_mad_u64_u32 v[2:3], s[6:7], s14, v23, 0
	v_mov_b32_e32 v4, v3
	v_mad_u64_u32 v[4:5], s[6:7], s15, v23, v[4:5]
	v_mov_b32_e32 v3, v4
	;; [unrolled: 2-line block ×4, first 2 shown]
	v_lshl_add_u64 v[6:7], s[2:3], 0, v[12:13]
	v_lshl_add_u64 v[2:3], v[2:3], 3, v[6:7]
	v_mad_u64_u32 v[6:7], s[6:7], s12, v22, 0
	v_mov_b32_e32 v8, v7
	v_mad_u64_u32 v[8:9], s[6:7], s13, v22, v[8:9]
	v_mov_b32_e32 v7, v8
	;; [unrolled: 2-line block ×3, first 2 shown]
	v_mad_u64_u32 v[10:11], s[6:7], s13, v21, v[10:11]
	v_add_u32_e32 v1, 0x54, v20
	v_mov_b32_e32 v9, v10
	v_mad_u64_u32 v[10:11], s[6:7], s12, v1, 0
	v_mov_b32_e32 v14, v11
	v_mad_u64_u32 v[14:15], s[6:7], s13, v1, v[14:15]
	v_lshl_add_u64 v[4:5], v[4:5], 3, v[2:3]
	v_mov_b32_e32 v11, v14
	v_lshl_add_u64 v[6:7], v[6:7], 3, v[2:3]
	v_lshl_add_u64 v[8:9], v[8:9], 3, v[2:3]
	;; [unrolled: 1-line block ×3, first 2 shown]
	global_load_dwordx2 v[10:11], v[4:5], off
	global_load_dwordx2 v[14:15], v[6:7], off
	;; [unrolled: 1-line block ×4, first 2 shown]
	v_mul_u32_u24_e32 v1, 0x380, v23
	v_add3_u32 v1, 0, v1, v24
	s_waitcnt vmcnt(2)
	ds_write2_b64 v1, v[10:11], v[14:15] offset1:28
	s_waitcnt vmcnt(0)
	ds_write2_b64 v1, v[16:17], v[18:19] offset0:56 offset1:84
.LBB0_15:
	s_or_b64 exec, exec, s[4:5]
	s_mov_b32 s4, 0x924924a
	v_mul_hi_u32 v26, v0, s4
	v_and_b32_e32 v1, 15, v26
	v_mul_u32_u24_e32 v2, 28, v26
	v_mul_u32_u24_e32 v1, 0x70, v1
	v_sub_u32_e32 v27, v0, v2
	v_lshlrev_b32_e32 v29, 3, v1
	v_lshlrev_b32_e32 v0, 3, v27
	v_add3_u32 v25, 0, v0, v29
	s_waitcnt lgkmcnt(0)
	s_barrier
	v_add3_u32 v28, 0, v29, v0
	ds_read2_b64 v[0:3], v25 offset0:28 offset1:56
	ds_read_b64 v[4:5], v28
	ds_read_b64 v[6:7], v25 offset:672
	v_mad_i32_i24 v8, v27, 24, v25
	s_waitcnt lgkmcnt(0)
	s_barrier
	v_pk_add_f32 v[2:3], v[4:5], v[2:3] neg_lo:[0,1] neg_hi:[0,1]
	v_pk_add_f32 v[6:7], v[0:1], v[6:7] neg_lo:[0,1] neg_hi:[0,1]
	v_pk_fma_f32 v[4:5], v[4:5], 2.0, v[2:3] op_sel_hi:[1,0,1] neg_lo:[0,0,1] neg_hi:[0,0,1]
	v_pk_fma_f32 v[0:1], v[0:1], 2.0, v[6:7] op_sel_hi:[1,0,1] neg_lo:[0,0,1] neg_hi:[0,0,1]
	s_nop 0
	v_pk_add_f32 v[16:17], v[4:5], v[0:1] neg_lo:[0,1] neg_hi:[0,1]
	v_pk_add_f32 v[0:1], v[2:3], v[6:7] op_sel:[0,1] op_sel_hi:[1,0]
	v_pk_fma_f32 v[14:15], v[4:5], 2.0, v[16:17] op_sel_hi:[1,0,1] neg_lo:[0,0,1] neg_hi:[0,0,1]
	v_pk_add_f32 v[4:5], v[2:3], v[6:7] op_sel:[0,1] op_sel_hi:[1,0] neg_lo:[0,1] neg_hi:[0,1]
	v_cmp_gt_u32_e32 vcc, 16, v27
	v_mov_b32_e32 v5, v1
	v_pk_fma_f32 v[18:19], v[2:3], 2.0, v[4:5] op_sel_hi:[1,0,1] neg_lo:[0,0,1] neg_hi:[0,0,1]
	ds_write2_b64 v8, v[14:15], v[18:19] offset1:1
	ds_write2_b64 v8, v[16:17], v[4:5] offset0:2 offset1:3
	v_mov_b32_e32 v7, v17
	v_mov_b32_e32 v2, v17
	;; [unrolled: 1-line block ×3, first 2 shown]
	s_waitcnt lgkmcnt(0)
	s_barrier
	s_and_saveexec_b64 s[4:5], vcc
	s_cbranch_execz .LBB0_17
; %bb.16:
	ds_read2_b64 v[4:7], v25 offset0:16 offset1:32
	ds_read2_b64 v[0:3], v25 offset0:48 offset1:64
	ds_read_b64 v[14:15], v28
	ds_read2_b64 v[8:11], v25 offset0:80 offset1:96
	s_waitcnt lgkmcnt(3)
	v_mov_b32_e32 v16, v6
	s_waitcnt lgkmcnt(2)
	v_mov_b32_e32 v17, v3
	v_mov_b32_e32 v19, v5
	;; [unrolled: 1-line block ×4, first 2 shown]
.LBB0_17:
	s_or_b64 exec, exec, s[4:5]
	s_waitcnt lgkmcnt(0)
	s_barrier
	s_and_saveexec_b64 s[4:5], vcc
	s_cbranch_execz .LBB0_19
; %bb.18:
	v_and_b32_e32 v3, 3, v27
	v_mul_u32_u24_e32 v0, 6, v3
	v_lshlrev_b32_e32 v0, 3, v0
	global_load_dwordx4 v[30:33], v0, s[16:17]
	global_load_dwordx4 v[34:37], v0, s[16:17] offset:32
	global_load_dwordx4 v[38:41], v0, s[16:17] offset:16
	v_lshrrev_b32_e32 v5, 2, v27
	v_mul_lo_u32 v5, v5, 28
	v_or_b32_e32 v3, v5, v3
	v_mov_b32_e32 v0, v8
	v_mov_b32_e32 v48, v19
	;; [unrolled: 1-line block ×5, first 2 shown]
	v_lshlrev_b32_e32 v3, 3, v3
	v_mov_b32_e32 v6, v9
	v_mov_b32_e32 v42, v9
	;; [unrolled: 1-line block ×5, first 2 shown]
	v_add3_u32 v29, 0, v3, v29
	v_mov_b32_e32 v47, v2
	s_mov_b32 s8, 0xbf08b237
	s_mov_b32 s9, 0x3eae86e6
	;; [unrolled: 1-line block ×5, first 2 shown]
	s_waitcnt vmcnt(2)
	v_pk_mul_f32 v[18:19], v[18:19], v[30:31] op_sel_hi:[0,1]
	s_waitcnt vmcnt(1)
	v_pk_mul_f32 v[10:11], v[10:11], v[36:37] op_sel_hi:[0,1]
	v_mov_b32_e32 v58, v33
	s_waitcnt vmcnt(0)
	v_mov_b32_e32 v59, v41
	v_mov_b32_e32 v62, v35
	;; [unrolled: 1-line block ×3, first 2 shown]
	v_mul_f32_e32 v45, v7, v33
	v_mul_f32_e32 v49, v9, v35
	v_mov_b32_e32 v61, v38
	v_mul_f32_e32 v3, v4, v39
	v_mul_f32_e32 v5, v1, v38
	;; [unrolled: 1-line block ×4, first 2 shown]
	v_pk_mul_f32 v[38:39], v[16:17], v[58:59]
	v_pk_mul_f32 v[0:1], v[0:1], v[62:63]
	v_fma_f32 v4, v16, v32, -v45
	v_pk_fma_f32 v[16:17], v[50:51], v[36:37], v[10:11] op_sel:[0,0,1] op_sel_hi:[1,1,0]
	v_pk_fma_f32 v[10:11], v[52:53], v[36:37], v[10:11] op_sel:[0,0,1] op_sel_hi:[0,1,0] neg_lo:[1,0,0] neg_hi:[1,0,0]
	v_pk_fma_f32 v[36:37], v[48:49], v[30:31], v[18:19] op_sel:[0,0,1] op_sel_hi:[1,1,0]
	v_pk_fma_f32 v[18:19], v[54:55], v[30:31], v[18:19] op_sel:[0,0,1] op_sel_hi:[0,1,0] neg_lo:[1,0,0] neg_hi:[1,0,0]
	v_mov_b32_e32 v56, v32
	v_mov_b32_e32 v57, v40
	;; [unrolled: 1-line block ×3, first 2 shown]
	v_fma_f32 v2, v8, v34, -v49
	v_pk_fma_f32 v[34:35], v[6:7], v[34:35], v[0:1]
	v_mov_b32_e32 v8, v19
	v_mov_b32_e32 v6, v11
	v_pk_add_f32 v[30:31], v[4:5], v[2:3]
	v_pk_fma_f32 v[0:1], v[42:43], v[60:61], v[0:1] neg_lo:[0,0,1] neg_hi:[0,0,1]
	v_pk_fma_f32 v[32:33], v[44:45], v[32:33], v[38:39]
	v_pk_fma_f32 v[38:39], v[46:47], v[56:57], v[38:39] neg_lo:[0,0,1] neg_hi:[0,0,1]
	v_pk_add_f32 v[6:7], v[8:9], v[6:7]
	v_mov_b32_e32 v17, v11
	v_mov_b32_e32 v37, v19
	v_mov_b32_e32 v3, v4
	v_mov_b32_e32 v5, v2
	v_mov_b32_e32 v35, v1
	v_mov_b32_e32 v33, v39
	v_mov_b32_e32 v4, v31
	v_mov_b32_e32 v2, v7
	v_pk_add_f32 v[10:11], v[36:37], v[16:17]
	v_pk_add_f32 v[16:17], v[36:37], v[16:17] neg_lo:[0,1] neg_hi:[0,1]
	v_pk_add_f32 v[18:19], v[32:33], v[34:35]
	v_pk_add_f32 v[2:3], v[2:3], v[4:5] neg_lo:[0,1] neg_hi:[0,1]
	v_mov_b32_e32 v0, v1
	v_mov_b32_e32 v8, v39
	v_pk_add_f32 v[32:33], v[32:33], v[34:35] neg_lo:[0,1] neg_hi:[0,1]
	v_mov_b32_e32 v35, v17
	v_mov_b32_e32 v9, v10
	;; [unrolled: 1-line block ×4, first 2 shown]
	v_pk_add_f32 v[38:39], v[30:31], v[6:7]
	v_pk_add_f32 v[0:1], v[0:1], v[8:9]
	v_pk_add_f32 v[8:9], v[34:35], v[32:33] neg_lo:[0,1] neg_hi:[0,1]
	v_mov_b32_e32 v7, v39
	v_pk_add_f32 v[40:41], v[38:39], v[0:1]
	v_mov_b32_e32 v1, v18
	v_pk_mul_f32 v[8:9], v[8:9], s[8:9]
	s_mov_b32 s8, 0x3f4a47b2
	v_pk_add_f32 v[42:43], v[6:7], v[0:1] neg_lo:[0,1] neg_hi:[0,1]
	s_mov_b32 s9, 0x3d64c772
	v_mov_b32_e32 v1, v10
	v_mov_b32_e32 v31, v39
	v_pk_add_f32 v[0:1], v[0:1], v[30:31] neg_lo:[0,1] neg_hi:[0,1]
	s_mov_b32 s20, s9
	s_mov_b32 s21, s8
	v_mov_b32_e32 v36, v16
	v_mov_b32_e32 v37, v33
	v_pk_mul_f32 v[0:1], v[0:1], s[20:21]
	v_pk_add_f32 v[4:5], v[32:33], v[2:3]
	v_pk_add_f32 v[36:37], v[36:37], v[2:3] neg_lo:[0,1] neg_hi:[0,1]
	v_pk_add_f32 v[14:15], v[14:15], v[40:41]
	v_pk_mul_f32 v[44:45], v[42:43], s[8:9]
	v_pk_fma_f32 v[38:39], v[42:43], s[8:9], v[0:1]
	s_mov_b32 s8, 0xbf955555
	v_pk_add_f32 v[4:5], v[4:5], v[16:17]
	v_pk_mul_f32 v[34:35], v[36:37], s[10:11]
	v_pk_fma_f32 v[40:41], v[40:41], s[8:9], v[14:15] op_sel_hi:[1,0,1]
	v_pk_fma_f32 v[36:37], v[36:37], s[10:11], v[8:9]
	v_pk_add_f32 v[38:39], v[38:39], v[40:41]
	v_pk_fma_f32 v[36:37], v[4:5], s[6:7], v[36:37] op_sel_hi:[1,0,1]
	v_mov_b32_e32 v31, v18
	v_pk_add_f32 v[42:43], v[38:39], v[36:37]
	v_pk_add_f32 v[36:37], v[38:39], v[36:37] neg_lo:[0,1] neg_hi:[0,1]
	v_mov_b32_e32 v38, v42
	v_mov_b32_e32 v39, v37
	;; [unrolled: 1-line block ×3, first 2 shown]
	ds_write2_b64 v29, v[14:15], v[38:39] offset1:4
	v_mov_b32_e32 v33, v3
	v_mov_b32_e32 v14, v44
	;; [unrolled: 1-line block ×3, first 2 shown]
	v_pk_add_f32 v[6:7], v[30:31], v[6:7] neg_lo:[0,1] neg_hi:[0,1]
	s_mov_b32 s10, 0x3f3bfb3b
	v_pk_add_f32 v[2:3], v[32:33], v[16:17] neg_lo:[0,1] neg_hi:[0,1]
	s_mov_b32 s8, 0x3f5ff5aa
	v_pk_fma_f32 v[10:11], v[6:7], s[10:11], v[14:15] op_sel_hi:[1,0,1] neg_lo:[1,0,1] neg_hi:[1,0,1]
	v_mov_b32_e32 v14, v34
	v_mov_b32_e32 v15, v9
	;; [unrolled: 1-line block ×4, first 2 shown]
	v_pk_fma_f32 v[14:15], v[2:3], s[8:9], v[14:15] op_sel_hi:[1,0,1] neg_lo:[1,0,1] neg_hi:[1,0,1]
	v_pk_fma_f32 v[2:3], v[2:3], s[8:9], v[8:9] op_sel_hi:[1,0,1] neg_lo:[0,0,1] neg_hi:[0,0,1]
	;; [unrolled: 1-line block ×3, first 2 shown]
	v_pk_add_f32 v[10:11], v[10:11], v[40:41]
	v_pk_fma_f32 v[14:15], v[4:5], s[6:7], v[14:15] op_sel_hi:[1,0,1]
	v_pk_fma_f32 v[2:3], v[4:5], s[6:7], v[2:3] op_sel_hi:[1,0,1]
	v_pk_add_f32 v[0:1], v[0:1], v[40:41]
	v_pk_add_f32 v[16:17], v[10:11], v[14:15]
	v_pk_add_f32 v[10:11], v[10:11], v[14:15] neg_lo:[0,1] neg_hi:[0,1]
	v_pk_add_f32 v[4:5], v[0:1], v[2:3] neg_lo:[0,1] neg_hi:[0,1]
	v_pk_add_f32 v[0:1], v[0:1], v[2:3]
	v_mov_b32_e32 v14, v16
	v_mov_b32_e32 v15, v11
	;; [unrolled: 1-line block ×7, first 2 shown]
	ds_write2_b64 v29, v[14:15], v[2:3] offset0:8 offset1:12
	ds_write2_b64 v29, v[0:1], v[10:11] offset0:16 offset1:20
	ds_write_b64 v29, v[36:37] offset:192
.LBB0_19:
	s_or_b64 exec, exec, s[4:5]
	v_add_u32_e32 v18, s18, v26
	v_mul_i32_i24_e32 v4, 3, v27
	v_mov_b32_e32 v5, 0
	v_mul_lo_u32 v19, v18, v27
	v_lshl_add_u64 v[14:15], v[4:5], 3, s[16:17]
	v_and_b32_e32 v4, 31, v19
	s_waitcnt lgkmcnt(0)
	s_barrier
	ds_read2_b64 v[0:3], v25 offset0:28 offset1:56
	ds_read_b64 v[8:9], v28
	ds_read_b64 v[10:11], v25 offset:672
	v_lshl_add_u32 v26, v4, 3, 0
	global_load_dwordx2 v[16:17], v[14:15], off offset:208
	global_load_dwordx4 v[4:7], v[14:15], off offset:192
	v_lshrrev_b32_e32 v14, 2, v19
	s_add_i32 s4, 0, 0x3800
	v_and_b32_e32 v14, 0xf8, v14
	v_add_u32_e32 v27, s4, v14
	v_lshrrev_b32_e32 v14, 7, v19
	v_and_b32_e32 v14, 0xf8, v14
	v_mul_lo_u32 v36, v18, 28
	v_add_u32_e32 v28, s4, v14
	v_add_u32_e32 v30, v19, v36
	ds_read_b64 v[14:15], v26 offset:14336
	ds_read_b64 v[18:19], v27 offset:256
	v_and_b32_e32 v26, 31, v30
	v_lshl_add_u32 v29, v26, 3, 0
	ds_read_b64 v[26:27], v28 offset:512
	ds_read_b64 v[28:29], v29 offset:14336
	v_add_u32_e32 v37, v30, v36
	s_waitcnt lgkmcnt(2)
	v_mul_f32_e32 v31, v14, v18
	v_fma_f32 v31, -v15, v19, v31
	v_pk_mul_f32 v[14:15], v[14:15], v[18:19] op_sel:[1,0] op_sel_hi:[0,1]
	v_add_f32_e32 v15, v14, v15
	s_waitcnt lgkmcnt(1)
	v_mul_f32_e32 v18, v31, v27
	v_mul_f32_e32 v14, v15, v27
	v_fmac_f32_e32 v18, v26, v15
	v_lshrrev_b32_e32 v15, 2, v30
	v_fma_f32 v14, v26, v31, -v14
	v_and_b32_e32 v15, 0xf8, v15
	v_and_b32_e32 v26, 31, v37
	v_add_u32_e32 v15, s4, v15
	v_lshl_add_u32 v32, v26, 3, 0
	v_lshrrev_b32_e32 v26, 2, v37
	v_lshrrev_b32_e32 v19, 7, v30
	v_and_b32_e32 v30, 0xf8, v26
	ds_read_b64 v[26:27], v15 offset:256
	v_and_b32_e32 v19, 0xf8, v19
	v_add_u32_e32 v19, s4, v19
	v_add_u32_e32 v15, s4, v30
	ds_read_b64 v[30:31], v19 offset:512
	ds_read_b64 v[32:33], v32 offset:14336
	;; [unrolled: 1-line block ×3, first 2 shown]
	s_waitcnt lgkmcnt(3)
	v_mul_f32_e32 v19, v28, v27
	v_mul_f32_e32 v15, v29, v27
	v_fmac_f32_e32 v19, v29, v26
	v_fma_f32 v15, v28, v26, -v15
	s_waitcnt lgkmcnt(2)
	v_mul_f32_e32 v26, v19, v31
	v_fma_f32 v38, v30, v15, -v26
	v_lshrrev_b32_e32 v26, 7, v37
	v_add_u32_e32 v27, v37, v36
	v_and_b32_e32 v26, 0xf8, v26
	v_lshrrev_b32_e32 v29, 2, v27
	v_mul_f32_e32 v15, v15, v31
	v_add_u32_e32 v26, s4, v26
	v_and_b32_e32 v28, 31, v27
	v_and_b32_e32 v29, 0xf8, v29
	v_lshrrev_b32_e32 v27, 7, v27
	v_fmac_f32_e32 v15, v30, v19
	v_add_u32_e32 v30, s4, v29
	v_and_b32_e32 v29, 0xf8, v27
	ds_read_b64 v[26:27], v26 offset:512
	s_waitcnt lgkmcnt(1)
	v_mul_f32_e32 v19, v33, v35
	v_fma_f32 v19, v32, v34, -v19
	v_mul_f32_e32 v35, v32, v35
	v_lshl_add_u32 v28, v28, 3, 0
	v_add_u32_e32 v32, s4, v29
	v_fmac_f32_e32 v35, v33, v34
	ds_read_b64 v[28:29], v28 offset:14336
	ds_read_b64 v[30:31], v30 offset:256
	;; [unrolled: 1-line block ×3, first 2 shown]
	s_waitcnt lgkmcnt(3)
	v_mul_f32_e32 v34, v35, v27
	v_fma_f32 v34, v26, v19, -v34
	v_mul_f32_e32 v19, v19, v27
	v_fmac_f32_e32 v19, v26, v35
	s_waitcnt lgkmcnt(1)
	v_mul_f32_e32 v26, v29, v31
	v_mul_f32_e32 v27, v28, v31
	v_fma_f32 v26, v28, v30, -v26
	v_fmac_f32_e32 v27, v29, v30
	s_waitcnt lgkmcnt(0)
	v_mul_f32_e32 v28, v27, v33
	v_mul_f32_e32 v31, v26, v33
	v_fma_f32 v30, v32, v26, -v28
	v_fmac_f32_e32 v31, v32, v27
	s_barrier
	s_waitcnt vmcnt(0)
	v_pk_mul_f32 v[26:27], v[4:5], v[0:1] op_sel:[0,1]
	s_nop 0
	v_pk_fma_f32 v[28:29], v[4:5], v[0:1], v[26:27] op_sel:[0,0,1] op_sel_hi:[1,1,0] neg_lo:[0,0,1] neg_hi:[0,0,1]
	v_pk_fma_f32 v[0:1], v[4:5], v[0:1], v[26:27] op_sel:[0,0,1] op_sel_hi:[1,0,0]
	s_nop 0
	v_mov_b32_e32 v29, v1
	v_pk_mul_f32 v[0:1], v[6:7], v[2:3] op_sel:[0,1]
	s_nop 0
	v_pk_fma_f32 v[4:5], v[6:7], v[2:3], v[0:1] op_sel:[0,0,1] op_sel_hi:[1,1,0] neg_lo:[0,0,1] neg_hi:[0,0,1]
	v_pk_fma_f32 v[0:1], v[6:7], v[2:3], v[0:1] op_sel:[0,0,1] op_sel_hi:[1,0,0]
	s_nop 0
	v_mov_b32_e32 v5, v1
	;; [unrolled: 6-line block ×3, first 2 shown]
	v_pk_add_f32 v[0:1], v[8:9], v[4:5] neg_lo:[0,1] neg_hi:[0,1]
	v_pk_add_f32 v[2:3], v[28:29], v[2:3] neg_lo:[0,1] neg_hi:[0,1]
	v_pk_fma_f32 v[4:5], v[8:9], 2.0, v[0:1] op_sel_hi:[1,0,1] neg_lo:[0,0,1] neg_hi:[0,0,1]
	v_pk_fma_f32 v[6:7], v[28:29], 2.0, v[2:3] op_sel_hi:[1,0,1] neg_lo:[0,0,1] neg_hi:[0,0,1]
	v_sub_f32_e32 v10, v0, v3
	v_pk_add_f32 v[6:7], v[4:5], v[6:7] neg_lo:[0,1] neg_hi:[0,1]
	v_add_f32_e32 v11, v1, v2
	v_pk_fma_f32 v[4:5], v[4:5], 2.0, v[6:7] op_sel_hi:[1,0,1] neg_lo:[0,0,1] neg_hi:[0,0,1]
	v_fma_f32 v8, v0, 2.0, -v10
	v_fma_f32 v9, v1, 2.0, -v11
	v_pk_mul_f32 v[0:1], v[4:5], v[18:19] op_sel_hi:[1,0]
	s_nop 0
	v_pk_fma_f32 v[2:3], v[4:5], v[14:15], v[0:1] op_sel:[0,0,1] op_sel_hi:[1,1,0] neg_lo:[0,0,1] neg_hi:[0,0,1]
	v_pk_fma_f32 v[0:1], v[4:5], v[14:15], v[0:1] op_sel:[0,0,1] op_sel_hi:[1,0,0]
	v_mul_f32_e32 v5, v8, v15
	v_mul_f32_e32 v0, v9, v15
	v_fma_f32 v4, v8, v38, -v0
	v_fmac_f32_e32 v5, v9, v38
	v_mul_f32_e32 v0, v7, v19
	v_mul_f32_e32 v9, v6, v19
	v_fma_f32 v8, v6, v34, -v0
	v_fmac_f32_e32 v9, v7, v34
	v_mul_f32_e32 v0, v11, v31
	v_mul_f32_e32 v7, v10, v31
	v_mov_b32_e32 v3, v1
	v_fma_f32 v6, v10, v30, -v0
	v_fmac_f32_e32 v7, v11, v30
	ds_write2_b64 v25, v[2:3], v[4:5] offset1:28
	ds_write2_b64 v25, v[8:9], v[6:7] offset0:56 offset1:84
	s_waitcnt lgkmcnt(0)
	s_barrier
	s_and_saveexec_b64 s[4:5], s[0:1]
	s_cbranch_execz .LBB0_21
; %bb.20:
	v_mad_u64_u32 v[4:5], s[0:1], s14, v23, 0
	v_mov_b32_e32 v0, v5
	v_mad_u64_u32 v[0:1], s[0:1], s15, v23, v[0:1]
	v_mad_u64_u32 v[6:7], s[0:1], s12, v20, 0
	v_mov_b32_e32 v5, v0
	v_mov_b32_e32 v0, v7
	v_mad_u64_u32 v[8:9], s[0:1], s13, v20, v[0:1]
	v_mul_u32_u24_e32 v0, 0x380, v23
	v_add3_u32 v10, 0, v0, v24
	ds_read2_b64 v[0:3], v10 offset1:28
	v_mov_b32_e32 v7, v8
	v_lshl_add_u64 v[8:9], s[2:3], 0, v[12:13]
	v_lshl_add_u64 v[4:5], v[4:5], 3, v[8:9]
	;; [unrolled: 1-line block ×3, first 2 shown]
	s_waitcnt lgkmcnt(0)
	global_store_dwordx2 v[6:7], v[0:1], off
	v_mad_u64_u32 v[0:1], s[0:1], s12, v22, 0
	v_mov_b32_e32 v6, v1
	v_mad_u64_u32 v[6:7], s[0:1], s13, v22, v[6:7]
	v_mov_b32_e32 v1, v6
	v_lshl_add_u64 v[0:1], v[0:1], 3, v[4:5]
	global_store_dwordx2 v[0:1], v[2:3], off
	v_mad_u64_u32 v[6:7], s[0:1], s12, v21, 0
	ds_read2_b64 v[0:3], v10 offset0:56 offset1:84
	v_mov_b32_e32 v8, v7
	v_mad_u64_u32 v[8:9], s[0:1], s13, v21, v[8:9]
	v_mov_b32_e32 v7, v8
	v_lshl_add_u64 v[6:7], v[6:7], 3, v[4:5]
	s_waitcnt lgkmcnt(0)
	global_store_dwordx2 v[6:7], v[0:1], off
	v_add_u32_e32 v7, 0x54, v20
	v_mad_u64_u32 v[0:1], s[0:1], s12, v7, 0
	v_mov_b32_e32 v6, v1
	v_mad_u64_u32 v[6:7], s[0:1], s13, v7, v[6:7]
	v_mov_b32_e32 v1, v6
	v_lshl_add_u64 v[0:1], v[0:1], 3, v[4:5]
	global_store_dwordx2 v[0:1], v[2:3], off
.LBB0_21:
	s_endpgm
	.section	.rodata,"a",@progbits
	.p2align	6, 0x0
	.amdhsa_kernel fft_rtc_fwd_len112_factors_4_7_4_wgs_448_tpt_28_sp_ip_CI_sbcc_twdbase5_3step
		.amdhsa_group_segment_fixed_size 0
		.amdhsa_private_segment_fixed_size 0
		.amdhsa_kernarg_size 96
		.amdhsa_user_sgpr_count 2
		.amdhsa_user_sgpr_dispatch_ptr 0
		.amdhsa_user_sgpr_queue_ptr 0
		.amdhsa_user_sgpr_kernarg_segment_ptr 1
		.amdhsa_user_sgpr_dispatch_id 0
		.amdhsa_user_sgpr_kernarg_preload_length 0
		.amdhsa_user_sgpr_kernarg_preload_offset 0
		.amdhsa_user_sgpr_private_segment_size 0
		.amdhsa_uses_dynamic_stack 0
		.amdhsa_enable_private_segment 0
		.amdhsa_system_sgpr_workgroup_id_x 1
		.amdhsa_system_sgpr_workgroup_id_y 0
		.amdhsa_system_sgpr_workgroup_id_z 0
		.amdhsa_system_sgpr_workgroup_info 0
		.amdhsa_system_vgpr_workitem_id 0
		.amdhsa_next_free_vgpr 64
		.amdhsa_next_free_sgpr 41
		.amdhsa_accum_offset 64
		.amdhsa_reserve_vcc 1
		.amdhsa_float_round_mode_32 0
		.amdhsa_float_round_mode_16_64 0
		.amdhsa_float_denorm_mode_32 3
		.amdhsa_float_denorm_mode_16_64 3
		.amdhsa_dx10_clamp 1
		.amdhsa_ieee_mode 1
		.amdhsa_fp16_overflow 0
		.amdhsa_tg_split 0
		.amdhsa_exception_fp_ieee_invalid_op 0
		.amdhsa_exception_fp_denorm_src 0
		.amdhsa_exception_fp_ieee_div_zero 0
		.amdhsa_exception_fp_ieee_overflow 0
		.amdhsa_exception_fp_ieee_underflow 0
		.amdhsa_exception_fp_ieee_inexact 0
		.amdhsa_exception_int_div_zero 0
	.end_amdhsa_kernel
	.text
.Lfunc_end0:
	.size	fft_rtc_fwd_len112_factors_4_7_4_wgs_448_tpt_28_sp_ip_CI_sbcc_twdbase5_3step, .Lfunc_end0-fft_rtc_fwd_len112_factors_4_7_4_wgs_448_tpt_28_sp_ip_CI_sbcc_twdbase5_3step
                                        ; -- End function
	.section	.AMDGPU.csdata,"",@progbits
; Kernel info:
; codeLenInByte = 3952
; NumSgprs: 47
; NumVgprs: 64
; NumAgprs: 0
; TotalNumVgprs: 64
; ScratchSize: 0
; MemoryBound: 0
; FloatMode: 240
; IeeeMode: 1
; LDSByteSize: 0 bytes/workgroup (compile time only)
; SGPRBlocks: 5
; VGPRBlocks: 7
; NumSGPRsForWavesPerEU: 47
; NumVGPRsForWavesPerEU: 64
; AccumOffset: 64
; Occupancy: 7
; WaveLimiterHint : 1
; COMPUTE_PGM_RSRC2:SCRATCH_EN: 0
; COMPUTE_PGM_RSRC2:USER_SGPR: 2
; COMPUTE_PGM_RSRC2:TRAP_HANDLER: 0
; COMPUTE_PGM_RSRC2:TGID_X_EN: 1
; COMPUTE_PGM_RSRC2:TGID_Y_EN: 0
; COMPUTE_PGM_RSRC2:TGID_Z_EN: 0
; COMPUTE_PGM_RSRC2:TIDIG_COMP_CNT: 0
; COMPUTE_PGM_RSRC3_GFX90A:ACCUM_OFFSET: 15
; COMPUTE_PGM_RSRC3_GFX90A:TG_SPLIT: 0
	.text
	.p2alignl 6, 3212836864
	.fill 256, 4, 3212836864
	.type	__hip_cuid_b8aa2b4b4f884a42,@object ; @__hip_cuid_b8aa2b4b4f884a42
	.section	.bss,"aw",@nobits
	.globl	__hip_cuid_b8aa2b4b4f884a42
__hip_cuid_b8aa2b4b4f884a42:
	.byte	0                               ; 0x0
	.size	__hip_cuid_b8aa2b4b4f884a42, 1

	.ident	"AMD clang version 19.0.0git (https://github.com/RadeonOpenCompute/llvm-project roc-6.4.0 25133 c7fe45cf4b819c5991fe208aaa96edf142730f1d)"
	.section	".note.GNU-stack","",@progbits
	.addrsig
	.addrsig_sym __hip_cuid_b8aa2b4b4f884a42
	.amdgpu_metadata
---
amdhsa.kernels:
  - .agpr_count:     0
    .args:
      - .actual_access:  read_only
        .address_space:  global
        .offset:         0
        .size:           8
        .value_kind:     global_buffer
      - .address_space:  global
        .offset:         8
        .size:           8
        .value_kind:     global_buffer
      - .offset:         16
        .size:           8
        .value_kind:     by_value
      - .actual_access:  read_only
        .address_space:  global
        .offset:         24
        .size:           8
        .value_kind:     global_buffer
      - .actual_access:  read_only
        .address_space:  global
        .offset:         32
        .size:           8
        .value_kind:     global_buffer
      - .offset:         40
        .size:           8
        .value_kind:     by_value
      - .actual_access:  read_only
        .address_space:  global
        .offset:         48
        .size:           8
        .value_kind:     global_buffer
      - .actual_access:  read_only
        .address_space:  global
        .offset:         56
        .size:           8
        .value_kind:     global_buffer
      - .offset:         64
        .size:           4
        .value_kind:     by_value
      - .actual_access:  read_only
        .address_space:  global
        .offset:         72
        .size:           8
        .value_kind:     global_buffer
      - .actual_access:  read_only
        .address_space:  global
        .offset:         80
        .size:           8
        .value_kind:     global_buffer
      - .address_space:  global
        .offset:         88
        .size:           8
        .value_kind:     global_buffer
    .group_segment_fixed_size: 0
    .kernarg_segment_align: 8
    .kernarg_segment_size: 96
    .language:       OpenCL C
    .language_version:
      - 2
      - 0
    .max_flat_workgroup_size: 448
    .name:           fft_rtc_fwd_len112_factors_4_7_4_wgs_448_tpt_28_sp_ip_CI_sbcc_twdbase5_3step
    .private_segment_fixed_size: 0
    .sgpr_count:     47
    .sgpr_spill_count: 0
    .symbol:         fft_rtc_fwd_len112_factors_4_7_4_wgs_448_tpt_28_sp_ip_CI_sbcc_twdbase5_3step.kd
    .uniform_work_group_size: 1
    .uses_dynamic_stack: false
    .vgpr_count:     64
    .vgpr_spill_count: 0
    .wavefront_size: 64
amdhsa.target:   amdgcn-amd-amdhsa--gfx950
amdhsa.version:
  - 1
  - 2
...

	.end_amdgpu_metadata
